;; amdgpu-corpus repo=ROCm/rocFFT kind=compiled arch=gfx906 opt=O3
	.text
	.amdgcn_target "amdgcn-amd-amdhsa--gfx906"
	.amdhsa_code_object_version 6
	.protected	fft_rtc_fwd_len243_factors_3_3_3_3_3_wgs_243_tpt_81_sp_ip_CI_sbcc_twdbase8_2step_dirReg_intrinsicRead ; -- Begin function fft_rtc_fwd_len243_factors_3_3_3_3_3_wgs_243_tpt_81_sp_ip_CI_sbcc_twdbase8_2step_dirReg_intrinsicRead
	.globl	fft_rtc_fwd_len243_factors_3_3_3_3_3_wgs_243_tpt_81_sp_ip_CI_sbcc_twdbase8_2step_dirReg_intrinsicRead
	.p2align	8
	.type	fft_rtc_fwd_len243_factors_3_3_3_3_3_wgs_243_tpt_81_sp_ip_CI_sbcc_twdbase8_2step_dirReg_intrinsicRead,@function
fft_rtc_fwd_len243_factors_3_3_3_3_3_wgs_243_tpt_81_sp_ip_CI_sbcc_twdbase8_2step_dirReg_intrinsicRead: ; @fft_rtc_fwd_len243_factors_3_3_3_3_3_wgs_243_tpt_81_sp_ip_CI_sbcc_twdbase8_2step_dirReg_intrinsicRead
; %bb.0:
	s_load_dwordx4 s[0:3], s[4:5], 0x18
	s_mov_b32 s7, 0
	s_mov_b64 s[24:25], 0
	s_waitcnt lgkmcnt(0)
	s_load_dwordx2 s[14:15], s[0:1], 0x8
	s_waitcnt lgkmcnt(0)
	s_add_u32 s8, s14, -1
	s_addc_u32 s9, s15, -1
	s_add_u32 s10, 0, 0x55500000
	s_addc_u32 s11, 0, 0x155
	s_mul_hi_u32 s13, s10, -3
	s_add_i32 s11, s11, 0x55555400
	s_sub_i32 s13, s13, s10
	s_mul_i32 s18, s11, -3
	s_mul_i32 s12, s10, -3
	s_add_i32 s13, s13, s18
	s_mul_hi_u32 s16, s11, s12
	s_mul_i32 s17, s11, s12
	s_mul_i32 s19, s10, s13
	s_mul_hi_u32 s12, s10, s12
	s_mul_hi_u32 s18, s10, s13
	s_add_u32 s12, s12, s19
	s_addc_u32 s18, 0, s18
	s_add_u32 s12, s12, s17
	s_mul_hi_u32 s19, s11, s13
	s_addc_u32 s12, s18, s16
	s_addc_u32 s16, s19, 0
	s_mul_i32 s13, s11, s13
	s_add_u32 s12, s12, s13
	v_mov_b32_e32 v1, s12
	s_addc_u32 s13, 0, s16
	v_add_co_u32_e32 v1, vcc, s10, v1
	s_cmp_lg_u64 vcc, 0
	s_addc_u32 s10, s11, s13
	v_readfirstlane_b32 s13, v1
	s_mul_i32 s12, s8, s10
	s_mul_hi_u32 s16, s8, s13
	s_mul_hi_u32 s11, s8, s10
	s_add_u32 s12, s16, s12
	s_addc_u32 s11, 0, s11
	s_mul_hi_u32 s17, s9, s13
	s_mul_i32 s13, s9, s13
	s_add_u32 s12, s12, s13
	s_mul_hi_u32 s16, s9, s10
	s_addc_u32 s11, s11, s17
	s_addc_u32 s12, s16, 0
	s_mul_i32 s10, s9, s10
	s_add_u32 s10, s11, s10
	s_addc_u32 s11, 0, s12
	s_add_u32 s12, s10, 1
	s_addc_u32 s13, s11, 0
	s_add_u32 s16, s10, 2
	s_mul_i32 s18, s11, 3
	s_mul_hi_u32 s19, s10, 3
	s_addc_u32 s17, s11, 0
	s_add_i32 s19, s19, s18
	s_mul_i32 s18, s10, 3
	v_mov_b32_e32 v1, s18
	v_sub_co_u32_e32 v1, vcc, s8, v1
	s_cmp_lg_u64 vcc, 0
	s_subb_u32 s8, s9, s19
	v_subrev_co_u32_e32 v2, vcc, 3, v1
	s_cmp_lg_u64 vcc, 0
	s_subb_u32 s9, s8, 0
	v_readfirstlane_b32 s18, v2
	s_cmp_gt_u32 s18, 2
	s_cselect_b32 s18, -1, 0
	s_cmp_eq_u32 s9, 0
	s_cselect_b32 s9, s18, -1
	s_cmp_lg_u32 s9, 0
	s_cselect_b32 s9, s16, s12
	s_cselect_b32 s12, s17, s13
	v_readfirstlane_b32 s13, v1
	s_cmp_gt_u32 s13, 2
	s_cselect_b32 s13, -1, 0
	s_cmp_eq_u32 s8, 0
	s_cselect_b32 s8, s13, -1
	s_cmp_lg_u32 s8, 0
	s_cselect_b32 s9, s9, s10
	s_cselect_b32 s8, s12, s11
	s_add_u32 s22, s9, 1
	s_addc_u32 s23, s8, 0
	v_mov_b32_e32 v1, s22
	v_mov_b32_e32 v2, s23
	v_cmp_lt_u64_e32 vcc, s[6:7], v[1:2]
	s_cbranch_vccnz .LBB0_2
; %bb.1:
	v_cvt_f32_u32_e32 v1, s22
	s_sub_i32 s8, 0, s22
	s_mov_b32 s25, s7
	v_rcp_iflag_f32_e32 v1, v1
	v_mul_f32_e32 v1, 0x4f7ffffe, v1
	v_cvt_u32_f32_e32 v1, v1
	v_readfirstlane_b32 s9, v1
	s_mul_i32 s8, s8, s9
	s_mul_hi_u32 s8, s9, s8
	s_add_i32 s9, s9, s8
	s_mul_hi_u32 s8, s6, s9
	s_mul_i32 s10, s8, s22
	s_sub_i32 s10, s6, s10
	s_add_i32 s9, s8, 1
	s_sub_i32 s11, s10, s22
	s_cmp_ge_u32 s10, s22
	s_cselect_b32 s8, s9, s8
	s_cselect_b32 s10, s11, s10
	s_add_i32 s9, s8, 1
	s_cmp_ge_u32 s10, s22
	s_cselect_b32 s24, s9, s8
.LBB0_2:
	s_load_dwordx2 s[12:13], s[4:5], 0x58
	s_load_dwordx4 s[8:11], s[2:3], 0x0
	s_load_dwordx2 s[20:21], s[4:5], 0x0
	s_load_dwordx4 s[16:19], s[4:5], 0x8
	s_mul_i32 s4, s24, s23
	s_mul_hi_u32 s5, s24, s22
	s_add_i32 s5, s5, s4
	s_mul_i32 s4, s24, s22
	s_sub_u32 s38, s6, s4
	s_subb_u32 s4, 0, s5
	s_mul_i32 s4, s4, 3
	s_mul_hi_u32 s33, s38, 3
	s_add_i32 s33, s33, s4
	s_mul_i32 s38, s38, 3
	s_waitcnt lgkmcnt(0)
	s_mul_i32 s4, s10, s33
	s_mul_hi_u32 s5, s10, s38
	s_add_i32 s4, s5, s4
	s_mul_i32 s5, s11, s38
	s_add_i32 s39, s4, s5
	v_cmp_lt_u64_e64 s[4:5], s[18:19], 3
	s_mul_i32 s40, s10, s38
	s_and_b64 vcc, exec, s[4:5]
	s_cbranch_vccnz .LBB0_12
; %bb.3:
	s_add_u32 s4, s2, 16
	s_addc_u32 s5, s3, 0
	s_add_u32 s26, s0, 16
	v_mov_b32_e32 v1, s18
	s_addc_u32 s27, s1, 0
	s_mov_b64 s[28:29], 2
	s_mov_b32 s30, 0
	v_mov_b32_e32 v2, s19
.LBB0_4:                                ; =>This Inner Loop Header: Depth=1
	s_load_dwordx2 s[34:35], s[26:27], 0x0
	s_waitcnt lgkmcnt(0)
	s_or_b64 s[0:1], s[24:25], s[34:35]
	s_mov_b32 s31, s1
	s_cmp_lg_u64 s[30:31], 0
	s_cbranch_scc0 .LBB0_9
; %bb.5:                                ;   in Loop: Header=BB0_4 Depth=1
	v_cvt_f32_u32_e32 v3, s34
	v_cvt_f32_u32_e32 v4, s35
	s_sub_u32 s0, 0, s34
	s_subb_u32 s1, 0, s35
	v_mac_f32_e32 v3, 0x4f800000, v4
	v_rcp_f32_e32 v3, v3
	v_mul_f32_e32 v3, 0x5f7ffffc, v3
	v_mul_f32_e32 v4, 0x2f800000, v3
	v_trunc_f32_e32 v4, v4
	v_mac_f32_e32 v3, 0xcf800000, v4
	v_cvt_u32_f32_e32 v4, v4
	v_cvt_u32_f32_e32 v3, v3
	v_readfirstlane_b32 s31, v4
	v_readfirstlane_b32 s36, v3
	s_mul_i32 s37, s0, s31
	s_mul_hi_u32 s42, s0, s36
	s_mul_i32 s41, s1, s36
	s_add_i32 s37, s42, s37
	s_mul_i32 s43, s0, s36
	s_add_i32 s37, s37, s41
	s_mul_hi_u32 s41, s36, s37
	s_mul_i32 s42, s36, s37
	s_mul_hi_u32 s36, s36, s43
	s_add_u32 s36, s36, s42
	s_addc_u32 s41, 0, s41
	s_mul_hi_u32 s44, s31, s43
	s_mul_i32 s43, s31, s43
	s_add_u32 s36, s36, s43
	s_mul_hi_u32 s42, s31, s37
	s_addc_u32 s36, s41, s44
	s_addc_u32 s41, s42, 0
	s_mul_i32 s37, s31, s37
	s_add_u32 s36, s36, s37
	s_addc_u32 s37, 0, s41
	v_add_co_u32_e32 v3, vcc, s36, v3
	s_cmp_lg_u64 vcc, 0
	s_addc_u32 s31, s31, s37
	v_readfirstlane_b32 s37, v3
	s_mul_i32 s36, s0, s31
	s_mul_hi_u32 s41, s0, s37
	s_add_i32 s36, s41, s36
	s_mul_i32 s1, s1, s37
	s_add_i32 s36, s36, s1
	s_mul_i32 s0, s0, s37
	s_mul_hi_u32 s41, s31, s0
	s_mul_i32 s42, s31, s0
	s_mul_i32 s44, s37, s36
	s_mul_hi_u32 s0, s37, s0
	s_mul_hi_u32 s43, s37, s36
	s_add_u32 s0, s0, s44
	s_addc_u32 s37, 0, s43
	s_add_u32 s0, s0, s42
	s_mul_hi_u32 s1, s31, s36
	s_addc_u32 s0, s37, s41
	s_addc_u32 s1, s1, 0
	s_mul_i32 s36, s31, s36
	s_add_u32 s0, s0, s36
	s_addc_u32 s1, 0, s1
	v_add_co_u32_e32 v3, vcc, s0, v3
	s_cmp_lg_u64 vcc, 0
	s_addc_u32 s0, s31, s1
	v_readfirstlane_b32 s36, v3
	s_mul_i32 s31, s24, s0
	s_mul_hi_u32 s37, s24, s36
	s_mul_hi_u32 s1, s24, s0
	s_add_u32 s31, s37, s31
	s_addc_u32 s1, 0, s1
	s_mul_hi_u32 s41, s25, s36
	s_mul_i32 s36, s25, s36
	s_add_u32 s31, s31, s36
	s_mul_hi_u32 s37, s25, s0
	s_addc_u32 s1, s1, s41
	s_addc_u32 s31, s37, 0
	s_mul_i32 s0, s25, s0
	s_add_u32 s36, s1, s0
	s_addc_u32 s31, 0, s31
	s_mul_i32 s0, s34, s31
	s_mul_hi_u32 s1, s34, s36
	s_add_i32 s0, s1, s0
	s_mul_i32 s1, s35, s36
	s_add_i32 s37, s0, s1
	s_mul_i32 s1, s34, s36
	v_mov_b32_e32 v3, s1
	s_sub_i32 s0, s25, s37
	v_sub_co_u32_e32 v3, vcc, s24, v3
	s_cmp_lg_u64 vcc, 0
	s_subb_u32 s41, s0, s35
	v_subrev_co_u32_e64 v4, s[0:1], s34, v3
	s_cmp_lg_u64 s[0:1], 0
	s_subb_u32 s0, s41, 0
	s_cmp_ge_u32 s0, s35
	v_readfirstlane_b32 s41, v4
	s_cselect_b32 s1, -1, 0
	s_cmp_ge_u32 s41, s34
	s_cselect_b32 s41, -1, 0
	s_cmp_eq_u32 s0, s35
	s_cselect_b32 s0, s41, s1
	s_add_u32 s1, s36, 1
	s_addc_u32 s41, s31, 0
	s_add_u32 s42, s36, 2
	s_addc_u32 s43, s31, 0
	s_cmp_lg_u32 s0, 0
	s_cselect_b32 s0, s42, s1
	s_cselect_b32 s1, s43, s41
	s_cmp_lg_u64 vcc, 0
	s_subb_u32 s37, s25, s37
	s_cmp_ge_u32 s37, s35
	v_readfirstlane_b32 s42, v3
	s_cselect_b32 s41, -1, 0
	s_cmp_ge_u32 s42, s34
	s_cselect_b32 s42, -1, 0
	s_cmp_eq_u32 s37, s35
	s_cselect_b32 s37, s42, s41
	s_cmp_lg_u32 s37, 0
	s_cselect_b32 s1, s1, s31
	s_cselect_b32 s0, s0, s36
	s_cbranch_execnz .LBB0_7
.LBB0_6:                                ;   in Loop: Header=BB0_4 Depth=1
	v_cvt_f32_u32_e32 v3, s34
	s_sub_i32 s0, 0, s34
	v_rcp_iflag_f32_e32 v3, v3
	v_mul_f32_e32 v3, 0x4f7ffffe, v3
	v_cvt_u32_f32_e32 v3, v3
	v_readfirstlane_b32 s1, v3
	s_mul_i32 s0, s0, s1
	s_mul_hi_u32 s0, s1, s0
	s_add_i32 s1, s1, s0
	s_mul_hi_u32 s0, s24, s1
	s_mul_i32 s31, s0, s34
	s_sub_i32 s31, s24, s31
	s_add_i32 s1, s0, 1
	s_sub_i32 s36, s31, s34
	s_cmp_ge_u32 s31, s34
	s_cselect_b32 s0, s1, s0
	s_cselect_b32 s31, s36, s31
	s_add_i32 s1, s0, 1
	s_cmp_ge_u32 s31, s34
	s_cselect_b32 s0, s1, s0
	s_mov_b32 s1, s30
.LBB0_7:                                ;   in Loop: Header=BB0_4 Depth=1
	s_mul_i32 s23, s34, s23
	s_mul_hi_u32 s31, s34, s22
	s_add_i32 s23, s31, s23
	s_mul_i32 s31, s35, s22
	s_add_i32 s23, s23, s31
	s_mul_i32 s31, s0, s35
	s_mul_hi_u32 s35, s0, s34
	s_load_dwordx2 s[36:37], s[4:5], 0x0
	s_add_i32 s31, s35, s31
	s_mul_i32 s35, s1, s34
	s_mul_i32 s22, s34, s22
	s_add_i32 s31, s31, s35
	s_mul_i32 s34, s0, s34
	s_sub_u32 s24, s24, s34
	s_subb_u32 s25, s25, s31
	s_waitcnt lgkmcnt(0)
	s_mul_i32 s25, s36, s25
	s_mul_hi_u32 s31, s36, s24
	s_add_i32 s25, s31, s25
	s_mul_i32 s31, s37, s24
	s_add_i32 s25, s25, s31
	s_mul_i32 s24, s36, s24
	s_add_u32 s40, s24, s40
	s_addc_u32 s39, s25, s39
	s_add_u32 s28, s28, 1
	s_addc_u32 s29, s29, 0
	;; [unrolled: 2-line block ×3, first 2 shown]
	v_cmp_ge_u64_e32 vcc, s[28:29], v[1:2]
	s_add_u32 s26, s26, 8
	s_addc_u32 s27, s27, 0
	s_cbranch_vccnz .LBB0_10
; %bb.8:                                ;   in Loop: Header=BB0_4 Depth=1
	s_mov_b64 s[24:25], s[0:1]
	s_branch .LBB0_4
.LBB0_9:                                ;   in Loop: Header=BB0_4 Depth=1
                                        ; implicit-def: $sgpr0_sgpr1
	s_branch .LBB0_6
.LBB0_10:
	v_mov_b32_e32 v1, s22
	v_mov_b32_e32 v2, s23
	v_cmp_lt_u64_e32 vcc, s[6:7], v[1:2]
	s_mov_b64 s[24:25], 0
	s_cbranch_vccnz .LBB0_12
; %bb.11:
	v_cvt_f32_u32_e32 v1, s22
	s_sub_i32 s0, 0, s22
	v_rcp_iflag_f32_e32 v1, v1
	v_mul_f32_e32 v1, 0x4f7ffffe, v1
	v_cvt_u32_f32_e32 v1, v1
	v_readfirstlane_b32 s1, v1
	s_mul_i32 s0, s0, s1
	s_mul_hi_u32 s0, s1, s0
	s_add_i32 s1, s1, s0
	s_mul_hi_u32 s0, s6, s1
	s_mul_i32 s4, s0, s22
	s_sub_i32 s4, s6, s4
	s_add_i32 s1, s0, 1
	s_sub_i32 s5, s4, s22
	s_cmp_ge_u32 s4, s22
	s_cselect_b32 s0, s1, s0
	s_cselect_b32 s4, s5, s4
	s_add_i32 s1, s0, 1
	s_cmp_ge_u32 s4, s22
	s_cselect_b32 s24, s1, s0
.LBB0_12:
	s_lshl_b64 s[0:1], s[18:19], 3
	s_add_u32 s0, s2, s0
	s_addc_u32 s1, s3, s1
	s_load_dwordx2 s[0:1], s[0:1], 0x0
	v_mul_u32_u24_e32 v1, 0x5556, v0
	v_lshrrev_b32_e32 v6, 16, v1
	v_mul_lo_u16_e32 v1, 3, v6
	v_sub_u16_e32 v5, v0, v1
	s_waitcnt lgkmcnt(0)
	s_mul_i32 s1, s1, s24
	s_mul_hi_u32 s2, s0, s24
	s_mul_i32 s0, s0, s24
	s_add_i32 s1, s2, s1
	s_add_u32 s2, s0, s40
	s_addc_u32 s3, s1, s39
	v_mov_b32_e32 v1, s33
	v_add_co_u32_e32 v3, vcc, s38, v5
	s_add_u32 s0, s38, 3
	v_mov_b32_e32 v7, s14
	v_addc_co_u32_e32 v4, vcc, 0, v1, vcc
	s_addc_u32 s1, s33, 0
	v_mov_b32_e32 v8, s15
	v_cmp_le_u64_e32 vcc, s[0:1], v[7:8]
	v_add_u32_e32 v7, 0x51, v6
	v_mad_u64_u32 v[1:2], s[4:5], s10, v5, 0
	v_mul_lo_u32 v9, s8, v6
	v_mul_lo_u32 v7, s8, v7
	v_add_u32_e32 v8, 0xa2, v6
	v_mul_lo_u32 v8, s8, v8
	v_cmp_gt_u64_e64 s[0:1], s[14:15], v[3:4]
	v_add_lshl_u32 v4, v1, v9, 3
	s_or_b64 vcc, vcc, s[0:1]
	v_add_lshl_u32 v7, v1, v7, 3
	s_lshl_b32 s4, s2, 3
	v_cndmask_b32_e32 v4, -1, v4, vcc
	s_mov_b32 s15, 0x20000
	s_mov_b32 s14, -2
	v_cndmask_b32_e32 v13, -1, v7, vcc
	v_add_lshl_u32 v7, v1, v8, 3
	v_cndmask_b32_e32 v14, -1, v7, vcc
	buffer_load_dwordx2 v[7:8], v4, s[12:15], s4 offen
	buffer_load_dwordx2 v[9:10], v13, s[12:15], s4 offen
	;; [unrolled: 1-line block ×3, first 2 shown]
	v_mov_b32_e32 v4, 3
	v_mul_u32_u24_e32 v13, 0x48, v6
	s_movk_i32 s0, 0xffd0
	s_movk_i32 s1, 0x32a
	s_waitcnt vmcnt(1)
	v_add_f32_e32 v14, v7, v9
	s_waitcnt vmcnt(0)
	v_add_f32_e32 v15, v9, v11
	v_sub_f32_e32 v19, v9, v11
	v_add_f32_e32 v9, v14, v11
	v_mul_u32_u24_e32 v11, 0x5556, v6
	v_add_f32_e32 v17, v8, v10
	v_mul_lo_u16_sdwa v11, v11, v4 dst_sel:DWORD dst_unused:UNUSED_PAD src0_sel:WORD_1 src1_sel:DWORD
	v_sub_f32_e32 v16, v10, v12
	v_add_f32_e32 v18, v10, v12
	v_add_f32_e32 v10, v17, v12
	v_sub_u16_e32 v17, v6, v11
	v_lshlrev_b16_e32 v11, 1, v17
	v_fma_f32 v7, -0.5, v15, v7
	v_lshlrev_b32_e32 v14, 3, v5
	v_lshlrev_b32_e32 v20, 3, v11
	v_fmac_f32_e32 v8, -0.5, v18
	v_mov_b32_e32 v11, v7
	v_add3_u32 v13, 0, v13, v14
	v_fmac_f32_e32 v7, 0xbf5db3d7, v16
	v_mov_b32_e32 v12, v8
	v_fmac_f32_e32 v8, 0x3f5db3d7, v19
	v_fmac_f32_e32 v11, 0x3f5db3d7, v16
	v_fmac_f32_e32 v12, 0xbf5db3d7, v19
	ds_write_b64 v13, v[7:8] offset:48
	ds_write2_b64 v13, v[9:10], v[11:12] offset1:3
	s_waitcnt lgkmcnt(0)
	s_barrier
	global_load_dwordx4 v[8:11], v20, s[20:21]
	v_mad_i32_i24 v7, v6, s0, v13
	ds_read_b64 v[12:13], v7 offset:3888
	v_mul_u32_u24_e32 v19, 0x1c72, v6
	s_movk_i32 s0, 0x51
	s_waitcnt vmcnt(0) lgkmcnt(0)
	v_mul_f32_e32 v15, v11, v13
	v_mul_f32_e32 v16, v11, v12
	v_fma_f32 v15, v10, v12, -v15
	v_fmac_f32_e32 v16, v10, v13
	ds_read2_b64 v[10:13], v7 offset1:243
	s_waitcnt lgkmcnt(0)
	s_barrier
	v_mul_f32_e32 v18, v9, v13
	v_mul_f32_e32 v13, v8, v13
	v_fma_f32 v18, v8, v12, -v18
	v_fmac_f32_e32 v13, v9, v12
	v_mov_b32_e32 v12, 9
	v_add_f32_e32 v8, v18, v15
	v_mul_lo_u16_sdwa v12, v19, v12 dst_sel:DWORD dst_unused:UNUSED_PAD src0_sel:WORD_1 src1_sel:DWORD
	v_mul_u32_u24_e32 v19, 0x1c72, v0
	v_add_f32_e32 v9, v13, v16
	v_fma_f32 v8, -0.5, v8, v10
	v_lshrrev_b32_e32 v19, 16, v19
	v_fma_f32 v9, -0.5, v9, v11
	v_add_f32_e32 v10, v18, v10
	v_add_f32_e32 v11, v13, v11
	v_mad_legacy_u16 v17, v19, 9, v17
	v_sub_u16_e32 v19, v6, v12
	v_sub_f32_e32 v13, v13, v16
	v_mov_b32_e32 v12, v8
	v_sub_f32_e32 v18, v18, v15
	v_add_f32_e32 v10, v10, v15
	v_fmac_f32_e32 v8, 0xbf5db3d7, v13
	v_fmac_f32_e32 v12, 0x3f5db3d7, v13
	v_lshlrev_b16_e32 v13, 1, v19
	v_mul_u32_u24_e32 v15, 24, v17
	v_add_f32_e32 v11, v11, v16
	v_lshlrev_b32_e32 v16, 3, v13
	v_add3_u32 v15, 0, v15, v14
	v_mov_b32_e32 v13, v9
	v_fmac_f32_e32 v9, 0x3f5db3d7, v18
	v_fmac_f32_e32 v13, 0xbf5db3d7, v18
	ds_write_b64 v15, v[8:9] offset:144
	ds_write2_b64 v15, v[10:11], v[12:13] offset1:9
	s_waitcnt lgkmcnt(0)
	s_barrier
	global_load_dwordx4 v[8:11], v16, s[20:21] offset:48
	ds_read_b64 v[12:13], v7 offset:3888
	v_mul_u32_u24_e32 v18, 0x97c, v6
	s_waitcnt vmcnt(0) lgkmcnt(0)
	v_mul_f32_e32 v15, v11, v13
	v_mul_f32_e32 v16, v11, v12
	v_fma_f32 v15, v10, v12, -v15
	v_fmac_f32_e32 v16, v10, v13
	ds_read2_b64 v[10:13], v7 offset1:243
	s_waitcnt lgkmcnt(0)
	s_barrier
	v_mul_f32_e32 v17, v9, v13
	v_mul_f32_e32 v13, v8, v13
	v_fma_f32 v17, v8, v12, -v17
	v_fmac_f32_e32 v13, v9, v12
	v_mov_b32_e32 v12, 27
	v_add_f32_e32 v8, v17, v15
	v_mul_lo_u16_sdwa v12, v18, v12 dst_sel:DWORD dst_unused:UNUSED_PAD src0_sel:WORD_1 src1_sel:DWORD
	v_mul_u32_u24_e32 v18, 0x97c, v0
	v_add_f32_e32 v9, v13, v16
	v_fma_f32 v8, -0.5, v8, v10
	v_lshrrev_b32_e32 v18, 16, v18
	v_fma_f32 v9, -0.5, v9, v11
	v_add_f32_e32 v10, v17, v10
	v_add_f32_e32 v11, v13, v11
	v_mad_legacy_u16 v18, v18, 27, v19
	v_sub_u16_e32 v19, v6, v12
	v_sub_f32_e32 v13, v13, v16
	v_mov_b32_e32 v12, v8
	v_sub_f32_e32 v17, v17, v15
	v_add_f32_e32 v10, v10, v15
	v_fmac_f32_e32 v8, 0xbf5db3d7, v13
	v_fmac_f32_e32 v12, 0x3f5db3d7, v13
	v_lshlrev_b16_e32 v13, 1, v19
	v_mul_u32_u24_e32 v15, 24, v18
	v_add_f32_e32 v11, v11, v16
	v_lshlrev_b32_e32 v16, 3, v13
	v_add3_u32 v15, 0, v15, v14
	v_mov_b32_e32 v13, v9
	v_fmac_f32_e32 v9, 0x3f5db3d7, v17
	v_fmac_f32_e32 v13, 0xbf5db3d7, v17
	ds_write_b64 v15, v[8:9] offset:432
	ds_write2_b64 v15, v[10:11], v[12:13] offset1:27
	s_waitcnt lgkmcnt(0)
	s_barrier
	global_load_dwordx4 v[8:11], v16, s[20:21] offset:192
	ds_read_b64 v[12:13], v7 offset:3888
	s_waitcnt vmcnt(0) lgkmcnt(0)
	v_mul_f32_e32 v15, v11, v13
	v_mul_f32_e32 v16, v11, v12
	v_fma_f32 v15, v10, v12, -v15
	v_fmac_f32_e32 v16, v10, v13
	ds_read2_b64 v[10:13], v7 offset1:243
	s_waitcnt lgkmcnt(0)
	s_barrier
	v_mul_f32_e32 v17, v9, v13
	v_mul_f32_e32 v13, v8, v13
	v_fma_f32 v17, v8, v12, -v17
	v_fmac_f32_e32 v13, v9, v12
	v_mul_u32_u24_e32 v12, 0x32a, v0
	v_lshrrev_b32_e32 v12, 16, v12
	v_add_f32_e32 v8, v17, v15
	v_add_f32_e32 v9, v13, v16
	v_mad_legacy_u16 v12, v12, s0, v19
	v_fma_f32 v8, -0.5, v8, v10
	v_fma_f32 v9, -0.5, v9, v11
	v_add_f32_e32 v10, v17, v10
	v_mul_u32_u24_e32 v12, 24, v12
	v_sub_f32_e32 v18, v13, v16
	v_sub_f32_e32 v17, v17, v15
	v_add_f32_e32 v11, v13, v11
	v_add3_u32 v14, 0, v12, v14
	v_mov_b32_e32 v12, v8
	v_fmac_f32_e32 v8, 0xbf5db3d7, v18
	v_mov_b32_e32 v13, v9
	v_fmac_f32_e32 v9, 0x3f5db3d7, v17
	v_add_f32_e32 v10, v10, v15
	v_add_f32_e32 v11, v11, v16
	v_fmac_f32_e32 v12, 0x3f5db3d7, v18
	v_fmac_f32_e32 v13, 0xbf5db3d7, v17
	ds_write_b64 v14, v[8:9] offset:1296
	ds_write2_b64 v14, v[10:11], v[12:13] offset1:81
	s_waitcnt lgkmcnt(0)
	s_barrier
	s_and_saveexec_b64 s[4:5], vcc
	s_cbranch_execz .LBB0_14
; %bb.13:
	v_mul_u32_u24_sdwa v8, v6, s1 dst_sel:DWORD dst_unused:UNUSED_PAD src0_sel:WORD_0 src1_sel:DWORD
	v_mul_lo_u16_sdwa v8, v8, s0 dst_sel:DWORD dst_unused:UNUSED_PAD src0_sel:WORD_1 src1_sel:DWORD
	v_sub_u16_e32 v18, v6, v8
	v_lshlrev_b32_e32 v6, 4, v18
	global_load_dwordx4 v[8:11], v6, s[20:21] offset:624
	ds_read_b64 v[16:17], v7 offset:3888
	ds_read2_b64 v[12:15], v7 offset1:243
	s_waitcnt vmcnt(0) lgkmcnt(1)
	v_mul_f32_e32 v6, v11, v17
	v_mul_f32_e32 v19, v11, v16
	v_fma_f32 v16, v10, v16, -v6
	s_waitcnt lgkmcnt(0)
	v_mul_f32_e32 v6, v9, v15
	v_fmac_f32_e32 v19, v10, v17
	v_fma_f32 v17, v8, v14, -v6
	v_mul_lo_u32 v6, v3, v18
	v_mul_f32_e32 v15, v8, v15
	v_fmac_f32_e32 v15, v9, v14
	v_lshlrev_b32_sdwa v10, v4, v6 dst_sel:DWORD dst_unused:UNUSED_PAD src0_sel:DWORD src1_sel:BYTE_0
	v_lshlrev_b32_sdwa v11, v4, v6 dst_sel:DWORD dst_unused:UNUSED_PAD src0_sel:DWORD src1_sel:BYTE_1
	global_load_dwordx2 v[6:7], v10, s[16:17]
	global_load_dwordx2 v[8:9], v11, s[16:17] offset:2048
	s_waitcnt vmcnt(0)
	v_mul_f32_e32 v10, v7, v9
	v_fma_f32 v14, v6, v8, -v10
	v_mul_f32_e32 v20, v6, v9
	v_add_u32_e32 v6, 0xa2, v18
	v_fmac_f32_e32 v20, v7, v8
	v_mul_lo_u32 v6, v3, v6
	v_add_u32_e32 v7, 0x51, v18
	v_mul_lo_u32 v3, v3, v7
	v_lshlrev_b32_sdwa v21, v4, v6 dst_sel:DWORD dst_unused:UNUSED_PAD src0_sel:DWORD src1_sel:BYTE_0
	v_lshlrev_b32_sdwa v22, v4, v6 dst_sel:DWORD dst_unused:UNUSED_PAD src0_sel:DWORD src1_sel:BYTE_1
	v_lshlrev_b32_sdwa v23, v4, v3 dst_sel:DWORD dst_unused:UNUSED_PAD src0_sel:DWORD src1_sel:BYTE_0
	v_lshlrev_b32_sdwa v24, v4, v3 dst_sel:DWORD dst_unused:UNUSED_PAD src0_sel:DWORD src1_sel:BYTE_1
	global_load_dwordx2 v[3:4], v21, s[16:17]
	global_load_dwordx2 v[6:7], v22, s[16:17] offset:2048
	global_load_dwordx2 v[8:9], v23, s[16:17]
	global_load_dwordx2 v[10:11], v24, s[16:17] offset:2048
	s_waitcnt vmcnt(2)
	v_mul_f32_e32 v21, v4, v7
	v_fma_f32 v21, v3, v6, -v21
	v_mul_f32_e32 v7, v3, v7
	s_waitcnt vmcnt(0)
	v_mul_f32_e32 v3, v9, v11
	v_fma_f32 v22, v8, v10, -v3
	v_mad_u64_u32 v[2:3], s[0:1], s11, v5, v[2:3]
	s_movk_i32 s0, 0x10e
	s_movk_i32 s1, 0xf3
	v_mul_u32_u24_sdwa v3, v0, s0 dst_sel:DWORD dst_unused:UNUSED_PAD src0_sel:WORD_0 src1_sel:DWORD
	v_mul_lo_u16_sdwa v3, v3, s1 dst_sel:DWORD dst_unused:UNUSED_PAD src0_sel:WORD_1 src1_sel:DWORD
	v_sub_u16_e32 v3, v0, v3
	v_sub_u32_e32 v0, v0, v3
	v_mul_f32_e32 v11, v8, v11
	v_add_u32_e32 v18, v0, v18
	v_add_f32_e32 v0, v15, v19
	v_add_f32_e32 v3, v17, v16
	v_fmac_f32_e32 v7, v4, v6
	v_fmac_f32_e32 v11, v9, v10
	v_add_f32_e32 v6, v15, v13
	v_fma_f32 v9, -0.5, v0, v13
	v_fma_f32 v13, -0.5, v3, v12
	v_mad_u64_u32 v[3:4], s[0:1], s8, v18, 0
	v_add_f32_e32 v8, v17, v12
	v_add_f32_e32 v10, v6, v19
	v_mov_b32_e32 v0, v4
	v_mad_u64_u32 v[4:5], s[0:1], s9, v18, v[0:1]
	s_lshl_b64 s[0:1], s[2:3], 3
	v_lshlrev_b64 v[0:1], 3, v[1:2]
	v_sub_f32_e32 v2, v17, v16
	v_sub_f32_e32 v5, v15, v19
	v_add_f32_e32 v12, v8, v16
	v_mov_b32_e32 v15, v9
	s_add_u32 s0, s12, s0
	v_mov_b32_e32 v16, v13
	v_fmac_f32_e32 v9, 0xbf5db3d7, v2
	v_fmac_f32_e32 v13, 0x3f5db3d7, v5
	;; [unrolled: 1-line block ×3, first 2 shown]
	v_mul_f32_e32 v6, v12, v20
	v_mul_f32_e32 v2, v10, v20
	s_addc_u32 s1, s13, s1
	v_fmac_f32_e32 v16, 0xbf5db3d7, v5
	v_fmac_f32_e32 v6, v10, v14
	v_fma_f32 v5, v12, v14, -v2
	v_mul_f32_e32 v10, v13, v11
	v_mul_f32_e32 v2, v9, v11
	v_fmac_f32_e32 v10, v9, v22
	v_fma_f32 v9, v13, v22, -v2
	v_mov_b32_e32 v2, s1
	v_add_co_u32_e32 v13, vcc, s0, v0
	v_addc_co_u32_e32 v14, vcc, v2, v1, vcc
	v_lshlrev_b64 v[0:1], 3, v[3:4]
	v_add_u32_e32 v4, 0x51, v18
	v_mad_u64_u32 v[2:3], s[0:1], s8, v4, 0
	v_add_co_u32_e32 v0, vcc, v13, v0
	v_mad_u64_u32 v[3:4], s[0:1], s9, v4, v[3:4]
	v_add_u32_e32 v4, 0xa2, v18
	v_mad_u64_u32 v[11:12], s[0:1], s8, v4, 0
	v_addc_co_u32_e32 v1, vcc, v14, v1, vcc
	global_store_dwordx2 v[0:1], v[5:6], off
	v_lshlrev_b64 v[0:1], 3, v[2:3]
	v_mov_b32_e32 v2, v12
	v_mad_u64_u32 v[2:3], s[0:1], s9, v4, v[2:3]
	v_add_co_u32_e32 v0, vcc, v13, v0
	v_addc_co_u32_e32 v1, vcc, v14, v1, vcc
	v_mov_b32_e32 v12, v2
	global_store_dwordx2 v[0:1], v[9:10], off
	v_lshlrev_b64 v[0:1], 3, v[11:12]
	v_mul_f32_e32 v8, v16, v7
	v_mul_f32_e32 v7, v15, v7
	v_add_co_u32_e32 v0, vcc, v13, v0
	v_fmac_f32_e32 v8, v15, v21
	v_fma_f32 v7, v16, v21, -v7
	v_addc_co_u32_e32 v1, vcc, v14, v1, vcc
	global_store_dwordx2 v[0:1], v[7:8], off
.LBB0_14:
	s_endpgm
	.section	.rodata,"a",@progbits
	.p2align	6, 0x0
	.amdhsa_kernel fft_rtc_fwd_len243_factors_3_3_3_3_3_wgs_243_tpt_81_sp_ip_CI_sbcc_twdbase8_2step_dirReg_intrinsicRead
		.amdhsa_group_segment_fixed_size 0
		.amdhsa_private_segment_fixed_size 0
		.amdhsa_kernarg_size 96
		.amdhsa_user_sgpr_count 6
		.amdhsa_user_sgpr_private_segment_buffer 1
		.amdhsa_user_sgpr_dispatch_ptr 0
		.amdhsa_user_sgpr_queue_ptr 0
		.amdhsa_user_sgpr_kernarg_segment_ptr 1
		.amdhsa_user_sgpr_dispatch_id 0
		.amdhsa_user_sgpr_flat_scratch_init 0
		.amdhsa_user_sgpr_private_segment_size 0
		.amdhsa_uses_dynamic_stack 0
		.amdhsa_system_sgpr_private_segment_wavefront_offset 0
		.amdhsa_system_sgpr_workgroup_id_x 1
		.amdhsa_system_sgpr_workgroup_id_y 0
		.amdhsa_system_sgpr_workgroup_id_z 0
		.amdhsa_system_sgpr_workgroup_info 0
		.amdhsa_system_vgpr_workitem_id 0
		.amdhsa_next_free_vgpr 25
		.amdhsa_next_free_sgpr 45
		.amdhsa_reserve_vcc 1
		.amdhsa_reserve_flat_scratch 0
		.amdhsa_float_round_mode_32 0
		.amdhsa_float_round_mode_16_64 0
		.amdhsa_float_denorm_mode_32 3
		.amdhsa_float_denorm_mode_16_64 3
		.amdhsa_dx10_clamp 1
		.amdhsa_ieee_mode 1
		.amdhsa_fp16_overflow 0
		.amdhsa_exception_fp_ieee_invalid_op 0
		.amdhsa_exception_fp_denorm_src 0
		.amdhsa_exception_fp_ieee_div_zero 0
		.amdhsa_exception_fp_ieee_overflow 0
		.amdhsa_exception_fp_ieee_underflow 0
		.amdhsa_exception_fp_ieee_inexact 0
		.amdhsa_exception_int_div_zero 0
	.end_amdhsa_kernel
	.text
.Lfunc_end0:
	.size	fft_rtc_fwd_len243_factors_3_3_3_3_3_wgs_243_tpt_81_sp_ip_CI_sbcc_twdbase8_2step_dirReg_intrinsicRead, .Lfunc_end0-fft_rtc_fwd_len243_factors_3_3_3_3_3_wgs_243_tpt_81_sp_ip_CI_sbcc_twdbase8_2step_dirReg_intrinsicRead
                                        ; -- End function
	.section	.AMDGPU.csdata,"",@progbits
; Kernel info:
; codeLenInByte = 3288
; NumSgprs: 49
; NumVgprs: 25
; ScratchSize: 0
; MemoryBound: 0
; FloatMode: 240
; IeeeMode: 1
; LDSByteSize: 0 bytes/workgroup (compile time only)
; SGPRBlocks: 6
; VGPRBlocks: 6
; NumSGPRsForWavesPerEU: 49
; NumVGPRsForWavesPerEU: 25
; Occupancy: 9
; WaveLimiterHint : 1
; COMPUTE_PGM_RSRC2:SCRATCH_EN: 0
; COMPUTE_PGM_RSRC2:USER_SGPR: 6
; COMPUTE_PGM_RSRC2:TRAP_HANDLER: 0
; COMPUTE_PGM_RSRC2:TGID_X_EN: 1
; COMPUTE_PGM_RSRC2:TGID_Y_EN: 0
; COMPUTE_PGM_RSRC2:TGID_Z_EN: 0
; COMPUTE_PGM_RSRC2:TIDIG_COMP_CNT: 0
	.type	__hip_cuid_a076422df14b4714,@object ; @__hip_cuid_a076422df14b4714
	.section	.bss,"aw",@nobits
	.globl	__hip_cuid_a076422df14b4714
__hip_cuid_a076422df14b4714:
	.byte	0                               ; 0x0
	.size	__hip_cuid_a076422df14b4714, 1

	.ident	"AMD clang version 19.0.0git (https://github.com/RadeonOpenCompute/llvm-project roc-6.4.0 25133 c7fe45cf4b819c5991fe208aaa96edf142730f1d)"
	.section	".note.GNU-stack","",@progbits
	.addrsig
	.addrsig_sym __hip_cuid_a076422df14b4714
	.amdgpu_metadata
---
amdhsa.kernels:
  - .args:
      - .actual_access:  read_only
        .address_space:  global
        .offset:         0
        .size:           8
        .value_kind:     global_buffer
      - .address_space:  global
        .offset:         8
        .size:           8
        .value_kind:     global_buffer
      - .offset:         16
        .size:           8
        .value_kind:     by_value
      - .actual_access:  read_only
        .address_space:  global
        .offset:         24
        .size:           8
        .value_kind:     global_buffer
      - .actual_access:  read_only
        .address_space:  global
        .offset:         32
        .size:           8
        .value_kind:     global_buffer
      - .offset:         40
        .size:           8
        .value_kind:     by_value
      - .actual_access:  read_only
        .address_space:  global
        .offset:         48
        .size:           8
        .value_kind:     global_buffer
      - .actual_access:  read_only
        .address_space:  global
        .offset:         56
        .size:           8
        .value_kind:     global_buffer
      - .offset:         64
        .size:           4
        .value_kind:     by_value
      - .actual_access:  read_only
        .address_space:  global
        .offset:         72
        .size:           8
        .value_kind:     global_buffer
      - .actual_access:  read_only
        .address_space:  global
        .offset:         80
        .size:           8
        .value_kind:     global_buffer
      - .address_space:  global
        .offset:         88
        .size:           8
        .value_kind:     global_buffer
    .group_segment_fixed_size: 0
    .kernarg_segment_align: 8
    .kernarg_segment_size: 96
    .language:       OpenCL C
    .language_version:
      - 2
      - 0
    .max_flat_workgroup_size: 243
    .name:           fft_rtc_fwd_len243_factors_3_3_3_3_3_wgs_243_tpt_81_sp_ip_CI_sbcc_twdbase8_2step_dirReg_intrinsicRead
    .private_segment_fixed_size: 0
    .sgpr_count:     49
    .sgpr_spill_count: 0
    .symbol:         fft_rtc_fwd_len243_factors_3_3_3_3_3_wgs_243_tpt_81_sp_ip_CI_sbcc_twdbase8_2step_dirReg_intrinsicRead.kd
    .uniform_work_group_size: 1
    .uses_dynamic_stack: false
    .vgpr_count:     25
    .vgpr_spill_count: 0
    .wavefront_size: 64
amdhsa.target:   amdgcn-amd-amdhsa--gfx906
amdhsa.version:
  - 1
  - 2
...

	.end_amdgpu_metadata
